;; amdgpu-corpus repo=ROCm/rocFFT kind=compiled arch=gfx906 opt=O3
	.text
	.amdgcn_target "amdgcn-amd-amdhsa--gfx906"
	.amdhsa_code_object_version 6
	.protected	fft_rtc_back_len918_factors_17_9_2_3_wgs_102_tpt_102_halfLds_sp_ip_CI_unitstride_sbrr_R2C_dirReg ; -- Begin function fft_rtc_back_len918_factors_17_9_2_3_wgs_102_tpt_102_halfLds_sp_ip_CI_unitstride_sbrr_R2C_dirReg
	.globl	fft_rtc_back_len918_factors_17_9_2_3_wgs_102_tpt_102_halfLds_sp_ip_CI_unitstride_sbrr_R2C_dirReg
	.p2align	8
	.type	fft_rtc_back_len918_factors_17_9_2_3_wgs_102_tpt_102_halfLds_sp_ip_CI_unitstride_sbrr_R2C_dirReg,@function
fft_rtc_back_len918_factors_17_9_2_3_wgs_102_tpt_102_halfLds_sp_ip_CI_unitstride_sbrr_R2C_dirReg: ; @fft_rtc_back_len918_factors_17_9_2_3_wgs_102_tpt_102_halfLds_sp_ip_CI_unitstride_sbrr_R2C_dirReg
; %bb.0:
	s_load_dwordx2 s[12:13], s[4:5], 0x50
	s_load_dwordx4 s[8:11], s[4:5], 0x0
	s_load_dwordx2 s[2:3], s[4:5], 0x18
	v_mul_u32_u24_e32 v1, 0x283, v0
	v_add_u32_sdwa v5, s6, v1 dst_sel:DWORD dst_unused:UNUSED_PAD src0_sel:DWORD src1_sel:WORD_1
	v_mov_b32_e32 v3, 0
	s_waitcnt lgkmcnt(0)
	v_cmp_lt_u64_e64 s[0:1], s[10:11], 2
	v_mov_b32_e32 v1, 0
	v_mov_b32_e32 v6, v3
	s_and_b64 vcc, exec, s[0:1]
	v_mov_b32_e32 v2, 0
	s_cbranch_vccnz .LBB0_8
; %bb.1:
	s_load_dwordx2 s[0:1], s[4:5], 0x10
	s_add_u32 s6, s2, 8
	s_addc_u32 s7, s3, 0
	v_mov_b32_e32 v1, 0
	v_mov_b32_e32 v2, 0
	s_waitcnt lgkmcnt(0)
	s_add_u32 s14, s0, 8
	s_addc_u32 s15, s1, 0
	s_mov_b64 s[16:17], 1
.LBB0_2:                                ; =>This Inner Loop Header: Depth=1
	s_load_dwordx2 s[18:19], s[14:15], 0x0
                                        ; implicit-def: $vgpr7_vgpr8
	s_waitcnt lgkmcnt(0)
	v_or_b32_e32 v4, s19, v6
	v_cmp_ne_u64_e32 vcc, 0, v[3:4]
	s_and_saveexec_b64 s[0:1], vcc
	s_xor_b64 s[20:21], exec, s[0:1]
	s_cbranch_execz .LBB0_4
; %bb.3:                                ;   in Loop: Header=BB0_2 Depth=1
	v_cvt_f32_u32_e32 v4, s18
	v_cvt_f32_u32_e32 v7, s19
	s_sub_u32 s0, 0, s18
	s_subb_u32 s1, 0, s19
	v_mac_f32_e32 v4, 0x4f800000, v7
	v_rcp_f32_e32 v4, v4
	v_mul_f32_e32 v4, 0x5f7ffffc, v4
	v_mul_f32_e32 v7, 0x2f800000, v4
	v_trunc_f32_e32 v7, v7
	v_mac_f32_e32 v4, 0xcf800000, v7
	v_cvt_u32_f32_e32 v7, v7
	v_cvt_u32_f32_e32 v4, v4
	v_mul_lo_u32 v8, s0, v7
	v_mul_hi_u32 v9, s0, v4
	v_mul_lo_u32 v11, s1, v4
	v_mul_lo_u32 v10, s0, v4
	v_add_u32_e32 v8, v9, v8
	v_add_u32_e32 v8, v8, v11
	v_mul_hi_u32 v9, v4, v10
	v_mul_lo_u32 v11, v4, v8
	v_mul_hi_u32 v13, v4, v8
	v_mul_hi_u32 v12, v7, v10
	v_mul_lo_u32 v10, v7, v10
	v_mul_hi_u32 v14, v7, v8
	v_add_co_u32_e32 v9, vcc, v9, v11
	v_addc_co_u32_e32 v11, vcc, 0, v13, vcc
	v_mul_lo_u32 v8, v7, v8
	v_add_co_u32_e32 v9, vcc, v9, v10
	v_addc_co_u32_e32 v9, vcc, v11, v12, vcc
	v_addc_co_u32_e32 v10, vcc, 0, v14, vcc
	v_add_co_u32_e32 v8, vcc, v9, v8
	v_addc_co_u32_e32 v9, vcc, 0, v10, vcc
	v_add_co_u32_e32 v4, vcc, v4, v8
	v_addc_co_u32_e32 v7, vcc, v7, v9, vcc
	v_mul_lo_u32 v8, s0, v7
	v_mul_hi_u32 v9, s0, v4
	v_mul_lo_u32 v10, s1, v4
	v_mul_lo_u32 v11, s0, v4
	v_add_u32_e32 v8, v9, v8
	v_add_u32_e32 v8, v8, v10
	v_mul_lo_u32 v12, v4, v8
	v_mul_hi_u32 v13, v4, v11
	v_mul_hi_u32 v14, v4, v8
	;; [unrolled: 1-line block ×3, first 2 shown]
	v_mul_lo_u32 v11, v7, v11
	v_mul_hi_u32 v9, v7, v8
	v_add_co_u32_e32 v12, vcc, v13, v12
	v_addc_co_u32_e32 v13, vcc, 0, v14, vcc
	v_mul_lo_u32 v8, v7, v8
	v_add_co_u32_e32 v11, vcc, v12, v11
	v_addc_co_u32_e32 v10, vcc, v13, v10, vcc
	v_addc_co_u32_e32 v9, vcc, 0, v9, vcc
	v_add_co_u32_e32 v8, vcc, v10, v8
	v_addc_co_u32_e32 v9, vcc, 0, v9, vcc
	v_add_co_u32_e32 v4, vcc, v4, v8
	v_addc_co_u32_e32 v9, vcc, v7, v9, vcc
	v_mad_u64_u32 v[7:8], s[0:1], v5, v9, 0
	v_mul_hi_u32 v10, v5, v4
	v_add_co_u32_e32 v11, vcc, v10, v7
	v_addc_co_u32_e32 v12, vcc, 0, v8, vcc
	v_mad_u64_u32 v[7:8], s[0:1], v6, v4, 0
	v_mad_u64_u32 v[9:10], s[0:1], v6, v9, 0
	v_add_co_u32_e32 v4, vcc, v11, v7
	v_addc_co_u32_e32 v4, vcc, v12, v8, vcc
	v_addc_co_u32_e32 v7, vcc, 0, v10, vcc
	v_add_co_u32_e32 v4, vcc, v4, v9
	v_addc_co_u32_e32 v9, vcc, 0, v7, vcc
	v_mul_lo_u32 v10, s19, v4
	v_mul_lo_u32 v11, s18, v9
	v_mad_u64_u32 v[7:8], s[0:1], s18, v4, 0
	v_add3_u32 v8, v8, v11, v10
	v_sub_u32_e32 v10, v6, v8
	v_mov_b32_e32 v11, s19
	v_sub_co_u32_e32 v7, vcc, v5, v7
	v_subb_co_u32_e64 v10, s[0:1], v10, v11, vcc
	v_subrev_co_u32_e64 v11, s[0:1], s18, v7
	v_subbrev_co_u32_e64 v10, s[0:1], 0, v10, s[0:1]
	v_cmp_le_u32_e64 s[0:1], s19, v10
	v_cndmask_b32_e64 v12, 0, -1, s[0:1]
	v_cmp_le_u32_e64 s[0:1], s18, v11
	v_cndmask_b32_e64 v11, 0, -1, s[0:1]
	v_cmp_eq_u32_e64 s[0:1], s19, v10
	v_cndmask_b32_e64 v10, v12, v11, s[0:1]
	v_add_co_u32_e64 v11, s[0:1], 2, v4
	v_addc_co_u32_e64 v12, s[0:1], 0, v9, s[0:1]
	v_add_co_u32_e64 v13, s[0:1], 1, v4
	v_addc_co_u32_e64 v14, s[0:1], 0, v9, s[0:1]
	v_subb_co_u32_e32 v8, vcc, v6, v8, vcc
	v_cmp_ne_u32_e64 s[0:1], 0, v10
	v_cmp_le_u32_e32 vcc, s19, v8
	v_cndmask_b32_e64 v10, v14, v12, s[0:1]
	v_cndmask_b32_e64 v12, 0, -1, vcc
	v_cmp_le_u32_e32 vcc, s18, v7
	v_cndmask_b32_e64 v7, 0, -1, vcc
	v_cmp_eq_u32_e32 vcc, s19, v8
	v_cndmask_b32_e32 v7, v12, v7, vcc
	v_cmp_ne_u32_e32 vcc, 0, v7
	v_cndmask_b32_e64 v7, v13, v11, s[0:1]
	v_cndmask_b32_e32 v8, v9, v10, vcc
	v_cndmask_b32_e32 v7, v4, v7, vcc
.LBB0_4:                                ;   in Loop: Header=BB0_2 Depth=1
	s_andn2_saveexec_b64 s[0:1], s[20:21]
	s_cbranch_execz .LBB0_6
; %bb.5:                                ;   in Loop: Header=BB0_2 Depth=1
	v_cvt_f32_u32_e32 v4, s18
	s_sub_i32 s20, 0, s18
	v_rcp_iflag_f32_e32 v4, v4
	v_mul_f32_e32 v4, 0x4f7ffffe, v4
	v_cvt_u32_f32_e32 v4, v4
	v_mul_lo_u32 v7, s20, v4
	v_mul_hi_u32 v7, v4, v7
	v_add_u32_e32 v4, v4, v7
	v_mul_hi_u32 v4, v5, v4
	v_mul_lo_u32 v7, v4, s18
	v_add_u32_e32 v8, 1, v4
	v_sub_u32_e32 v7, v5, v7
	v_subrev_u32_e32 v9, s18, v7
	v_cmp_le_u32_e32 vcc, s18, v7
	v_cndmask_b32_e32 v7, v7, v9, vcc
	v_cndmask_b32_e32 v4, v4, v8, vcc
	v_add_u32_e32 v8, 1, v4
	v_cmp_le_u32_e32 vcc, s18, v7
	v_cndmask_b32_e32 v7, v4, v8, vcc
	v_mov_b32_e32 v8, v3
.LBB0_6:                                ;   in Loop: Header=BB0_2 Depth=1
	s_or_b64 exec, exec, s[0:1]
	v_mul_lo_u32 v4, v8, s18
	v_mul_lo_u32 v11, v7, s19
	v_mad_u64_u32 v[9:10], s[0:1], v7, s18, 0
	s_load_dwordx2 s[0:1], s[6:7], 0x0
	s_add_u32 s16, s16, 1
	v_add3_u32 v4, v10, v11, v4
	v_sub_co_u32_e32 v5, vcc, v5, v9
	v_subb_co_u32_e32 v4, vcc, v6, v4, vcc
	s_waitcnt lgkmcnt(0)
	v_mul_lo_u32 v4, s0, v4
	v_mul_lo_u32 v6, s1, v5
	v_mad_u64_u32 v[1:2], s[0:1], s0, v5, v[1:2]
	s_addc_u32 s17, s17, 0
	s_add_u32 s6, s6, 8
	v_add3_u32 v2, v6, v2, v4
	v_mov_b32_e32 v4, s10
	v_mov_b32_e32 v5, s11
	s_addc_u32 s7, s7, 0
	v_cmp_ge_u64_e32 vcc, s[16:17], v[4:5]
	s_add_u32 s14, s14, 8
	s_addc_u32 s15, s15, 0
	s_cbranch_vccnz .LBB0_9
; %bb.7:                                ;   in Loop: Header=BB0_2 Depth=1
	v_mov_b32_e32 v5, v7
	v_mov_b32_e32 v6, v8
	s_branch .LBB0_2
.LBB0_8:
	v_mov_b32_e32 v8, v6
	v_mov_b32_e32 v7, v5
.LBB0_9:
	s_lshl_b64 s[0:1], s[10:11], 3
	s_add_u32 s0, s2, s0
	s_addc_u32 s1, s3, s1
	s_load_dwordx2 s[2:3], s[0:1], 0x0
	s_load_dwordx2 s[6:7], s[4:5], 0x20
	s_waitcnt lgkmcnt(0)
	v_mad_u64_u32 v[1:2], s[0:1], s2, v7, v[1:2]
	s_mov_b32 s0, 0x2828283
	v_mul_lo_u32 v3, s2, v8
	v_mul_lo_u32 v4, s3, v7
	v_mul_hi_u32 v5, v0, s0
	v_cmp_gt_u64_e64 s[0:1], s[6:7], v[7:8]
	v_add3_u32 v2, v4, v2, v3
	v_mul_u32_u24_e32 v3, 0x66, v5
	v_sub_u32_e32 v32, v0, v3
	v_lshlrev_b64 v[34:35], 3, v[1:2]
	v_lshl_add_u32 v46, v32, 3, 0
	s_and_saveexec_b64 s[2:3], s[0:1]
	s_cbranch_execz .LBB0_11
; %bb.10:
	v_mov_b32_e32 v33, 0
	v_mov_b32_e32 v0, s13
	v_add_co_u32_e32 v2, vcc, s12, v34
	v_addc_co_u32_e32 v3, vcc, v0, v35, vcc
	v_lshlrev_b64 v[0:1], 3, v[32:33]
	v_add_co_u32_e32 v0, vcc, v2, v0
	v_addc_co_u32_e32 v1, vcc, v3, v1, vcc
	v_add_co_u32_e32 v10, vcc, 0x1000, v0
	global_load_dwordx2 v[2:3], v[0:1], off
	global_load_dwordx2 v[4:5], v[0:1], off offset:816
	global_load_dwordx2 v[6:7], v[0:1], off offset:1632
	;; [unrolled: 1-line block ×3, first 2 shown]
	v_addc_co_u32_e32 v11, vcc, 0, v1, vcc
	global_load_dwordx2 v[12:13], v[0:1], off offset:3264
	global_load_dwordx2 v[14:15], v[0:1], off offset:4080
	;; [unrolled: 1-line block ×5, first 2 shown]
	v_add_u32_e32 v0, 0x400, v46
	v_add_u32_e32 v1, 0x800, v46
	v_add_u32_e32 v10, 0x1000, v46
	s_waitcnt vmcnt(7)
	ds_write2_b64 v46, v[2:3], v[4:5] offset1:102
	s_waitcnt vmcnt(5)
	ds_write2_b64 v0, v[6:7], v[8:9] offset0:76 offset1:178
	s_waitcnt vmcnt(3)
	ds_write2_b64 v1, v[12:13], v[14:15] offset0:152 offset1:254
	;; [unrolled: 2-line block ×3, first 2 shown]
	s_waitcnt vmcnt(0)
	ds_write_b64 v46, v[20:21] offset:6528
.LBB0_11:
	s_or_b64 exec, exec, s[2:3]
	v_add_u32_e32 v4, 0x1400, v46
	s_waitcnt lgkmcnt(0)
	s_barrier
	ds_read2_b64 v[0:3], v46 offset1:54
	ds_read_b64 v[44:45], v46 offset:6912
	ds_read2_b64 v[16:19], v46 offset0:108 offset1:162
	ds_read2_b64 v[4:7], v4 offset0:116 offset1:170
	s_mov_b32 s4, 0xbf7ba420
	s_mov_b32 s5, 0x3f6eb680
	s_waitcnt lgkmcnt(2)
	v_sub_f32_e32 v65, v3, v45
	v_add_f32_e32 v49, v44, v2
	v_mul_f32_e32 v38, 0xbe3c28d5, v65
	s_waitcnt lgkmcnt(0)
	v_sub_f32_e32 v66, v17, v7
	v_add_f32_e32 v68, v45, v3
	v_fma_f32 v8, v49, s4, -v38
	v_add_f32_e32 v50, v6, v16
	v_mul_f32_e32 v40, 0x3eb8f4ab, v66
	v_mul_f32_e32 v39, 0xbf7ba420, v68
	v_add_f32_e32 v8, v0, v8
	v_fma_f32 v9, v50, s5, -v40
	v_add_f32_e32 v69, v7, v17
	v_sub_f32_e32 v51, v2, v44
	v_add_f32_e32 v8, v9, v8
	v_mov_b32_e32 v9, v39
	v_mul_f32_e32 v42, 0x3f6eb680, v69
	v_fmac_f32_e32 v9, 0xbe3c28d5, v51
	v_sub_f32_e32 v53, v16, v6
	v_mov_b32_e32 v10, v42
	v_sub_f32_e32 v67, v19, v5
	v_add_f32_e32 v9, v1, v9
	v_fmac_f32_e32 v10, 0x3eb8f4ab, v53
	s_mov_b32 s6, 0xbf59a7d5
	v_add_f32_e32 v52, v4, v18
	v_mul_f32_e32 v41, 0xbf06c442, v67
	v_add_f32_e32 v12, v10, v9
	v_fma_f32 v9, v52, s6, -v41
	v_add_u32_e32 v47, 0x400, v46
	v_add_f32_e32 v13, v9, v8
	v_add_u32_e32 v33, 0x1000, v46
	ds_read2_b64 v[20:23], v47 offset0:88 offset1:142
	ds_read2_b64 v[8:11], v33 offset0:136 offset1:190
	v_add_f32_e32 v71, v5, v19
	v_mul_f32_e32 v43, 0xbf59a7d5, v71
	v_sub_f32_e32 v55, v18, v4
	v_mov_b32_e32 v14, v43
	s_waitcnt lgkmcnt(0)
	v_sub_f32_e32 v70, v21, v11
	v_fmac_f32_e32 v14, 0xbf06c442, v55
	s_mov_b32 s7, 0x3f3d2fb0
	v_add_f32_e32 v54, v10, v20
	v_mul_f32_e32 v81, 0x3f2c7751, v70
	v_add_f32_e32 v73, v11, v21
	v_add_f32_e32 v12, v14, v12
	v_fma_f32 v14, v54, s7, -v81
	v_mul_f32_e32 v83, 0x3f3d2fb0, v73
	v_add_f32_e32 v13, v14, v13
	v_sub_f32_e32 v57, v20, v10
	v_mov_b32_e32 v14, v83
	v_sub_f32_e32 v72, v23, v9
	v_fmac_f32_e32 v14, 0x3f2c7751, v57
	s_mov_b32 s10, 0xbf1a4643
	v_add_f32_e32 v56, v8, v22
	v_mul_f32_e32 v82, 0xbf4c4adb, v72
	v_add_f32_e32 v28, v14, v12
	v_fma_f32 v12, v56, s10, -v82
	v_add_u32_e32 v48, 0x800, v46
	v_add_f32_e32 v29, v12, v13
	ds_read2_b64 v[24:27], v48 offset0:68 offset1:122
	ds_read2_b64 v[12:15], v33 offset0:28 offset1:82
	v_add_f32_e32 v75, v9, v23
	v_mul_f32_e32 v84, 0xbf1a4643, v75
	v_sub_f32_e32 v59, v22, v8
	v_mov_b32_e32 v30, v84
	s_waitcnt lgkmcnt(0)
	v_sub_f32_e32 v74, v25, v15
	v_fmac_f32_e32 v30, 0xbf4c4adb, v59
	s_mov_b32 s11, 0x3ee437d1
	v_add_f32_e32 v58, v14, v24
	v_mul_f32_e32 v85, 0x3f65296c, v74
	v_add_f32_e32 v78, v15, v25
	v_add_f32_e32 v28, v30, v28
	v_fma_f32 v30, v58, s11, -v85
	v_mul_f32_e32 v87, 0x3ee437d1, v78
	v_add_f32_e32 v29, v30, v29
	v_sub_f32_e32 v61, v24, v14
	v_mov_b32_e32 v30, v87
	v_sub_f32_e32 v76, v27, v13
	v_fmac_f32_e32 v30, 0x3f65296c, v61
	s_mov_b32 s14, 0xbe8c1d8e
	v_add_f32_e32 v60, v12, v26
	v_mul_f32_e32 v86, 0xbf763a35, v76
	v_add_f32_e32 v36, v30, v28
	v_fma_f32 v28, v60, s14, -v86
	v_add_f32_e32 v37, v28, v29
	ds_read2_b64 v[28:31], v48 offset0:176 offset1:230
	v_add_f32_e32 v80, v13, v27
	v_mul_f32_e32 v89, 0xbe8c1d8e, v80
	v_sub_f32_e32 v63, v26, v12
	v_mov_b32_e32 v62, v89
	v_fmac_f32_e32 v62, 0xbf763a35, v63
	s_waitcnt lgkmcnt(0)
	v_sub_f32_e32 v77, v29, v31
	v_add_f32_e32 v91, v62, v36
	s_mov_b32 s15, 0x3dbcf732
	v_add_f32_e32 v62, v30, v28
	v_mul_f32_e32 v88, 0x3f7ee86f, v77
	v_add_f32_e32 v79, v31, v29
	v_fma_f32 v36, v62, s15, -v88
	v_mul_f32_e32 v90, 0x3dbcf732, v79
	v_add_f32_e32 v36, v36, v37
	v_sub_f32_e32 v64, v28, v30
	v_mov_b32_e32 v37, v90
	v_fmac_f32_e32 v37, 0x3f7ee86f, v64
	v_add_f32_e32 v37, v37, v91
	v_cmp_gt_u32_e32 vcc, 54, v32
	s_barrier
	s_and_saveexec_b64 s[2:3], vcc
	s_cbranch_execz .LBB0_13
; %bb.12:
	v_mul_f32_e32 v91, 0xbf7ba420, v49
	v_mul_f32_e32 v93, 0x3f6eb680, v50
	v_add_f32_e32 v38, v91, v38
	v_mul_f32_e32 v95, 0xbf59a7d5, v52
	v_add_f32_e32 v38, v0, v38
	v_add_f32_e32 v40, v93, v40
	v_mul_f32_e32 v97, 0x3f3d2fb0, v54
	v_add_f32_e32 v38, v40, v38
	;; [unrolled: 3-line block ×3, first 2 shown]
	v_add_f32_e32 v40, v97, v81
	v_mul_f32_e32 v92, 0xbe3c28d5, v51
	v_mul_f32_e32 v101, 0x3ee437d1, v58
	v_add_f32_e32 v38, v40, v38
	v_add_f32_e32 v40, v99, v82
	v_mul_f32_e32 v94, 0x3eb8f4ab, v53
	v_mul_f32_e32 v103, 0xbe8c1d8e, v60
	v_sub_f32_e32 v39, v39, v92
	v_add_f32_e32 v38, v40, v38
	v_add_f32_e32 v40, v101, v85
	v_mul_f32_e32 v96, 0xbf06c442, v55
	v_mul_f32_e32 v105, 0x3dbcf732, v62
	v_add_f32_e32 v39, v1, v39
	v_sub_f32_e32 v42, v42, v94
	v_add_f32_e32 v38, v40, v38
	v_add_f32_e32 v40, v103, v86
	v_mul_f32_e32 v98, 0x3f2c7751, v57
	v_add_f32_e32 v39, v42, v39
	v_sub_f32_e32 v42, v43, v96
	v_add_f32_e32 v38, v40, v38
	v_add_f32_e32 v40, v105, v88
	v_mul_f32_e32 v82, 0xbf59a7d5, v68
	v_add_f32_e32 v39, v42, v39
	v_sub_f32_e32 v42, v83, v98
	v_add_f32_e32 v38, v40, v38
	v_mov_b32_e32 v40, v82
	v_mul_f32_e32 v83, 0x3ee437d1, v69
	v_mul_f32_e32 v100, 0xbf4c4adb, v59
	v_fmac_f32_e32 v40, 0x3f06c442, v51
	v_mov_b32_e32 v41, v83
	v_add_f32_e32 v39, v42, v39
	v_sub_f32_e32 v42, v84, v100
	v_add_f32_e32 v40, v1, v40
	v_fmac_f32_e32 v41, 0xbf65296c, v53
	v_mul_f32_e32 v84, 0x3dbcf732, v71
	v_add_f32_e32 v40, v41, v40
	v_mov_b32_e32 v41, v84
	v_fmac_f32_e32 v41, 0x3f7ee86f, v55
	v_mul_f32_e32 v85, 0xbf1a4643, v73
	v_add_f32_e32 v40, v41, v40
	v_mov_b32_e32 v41, v85
	v_fmac_f32_e32 v41, 0xbf4c4adb, v57
	v_mul_f32_e32 v86, 0x3f6eb680, v75
	v_mul_f32_e32 v102, 0x3f65296c, v61
	v_add_f32_e32 v40, v41, v40
	v_mov_b32_e32 v41, v86
	v_add_f32_e32 v39, v42, v39
	v_sub_f32_e32 v42, v87, v102
	v_fmac_f32_e32 v41, 0x3eb8f4ab, v59
	v_mul_f32_e32 v87, 0xbf7ba420, v78
	v_add_f32_e32 v40, v41, v40
	v_mov_b32_e32 v41, v87
	v_fmac_f32_e32 v41, 0x3e3c28d5, v61
	v_mul_f32_e32 v88, 0x3f3d2fb0, v80
	v_add_f32_e32 v40, v41, v40
	v_mov_b32_e32 v41, v88
	v_fmac_f32_e32 v41, 0xbf2c7751, v63
	v_mul_f32_e32 v81, 0xbe8c1d8e, v79
	v_mul_f32_e32 v104, 0xbf763a35, v63
	v_add_f32_e32 v40, v41, v40
	v_mov_b32_e32 v41, v81
	v_mul_f32_e32 v106, 0x3f7ee86f, v64
	v_add_f32_e32 v39, v42, v39
	v_sub_f32_e32 v42, v89, v104
	v_fmac_f32_e32 v41, 0x3f763a35, v64
	v_mul_f32_e32 v89, 0xbf06c442, v65
	v_add_f32_e32 v39, v42, v39
	v_sub_f32_e32 v42, v90, v106
	v_add_f32_e32 v41, v41, v40
	v_mov_b32_e32 v40, v89
	v_mul_f32_e32 v90, 0x3f65296c, v66
	v_add_f32_e32 v39, v42, v39
	v_fmac_f32_e32 v40, 0xbf59a7d5, v49
	v_mov_b32_e32 v42, v90
	v_add_f32_e32 v40, v0, v40
	v_fmac_f32_e32 v42, 0x3ee437d1, v50
	v_mul_f32_e32 v92, 0xbf7ee86f, v67
	v_add_f32_e32 v40, v42, v40
	v_mov_b32_e32 v42, v92
	v_fmac_f32_e32 v42, 0x3dbcf732, v52
	v_mul_f32_e32 v93, 0x3f4c4adb, v70
	v_add_f32_e32 v40, v42, v40
	v_mov_b32_e32 v42, v93
	;; [unrolled: 4-line block ×7, first 2 shown]
	v_mul_f32_e32 v99, 0xbe8c1d8e, v69
	v_fmac_f32_e32 v42, 0x3f4c4adb, v51
	v_mov_b32_e32 v43, v99
	v_add_f32_e32 v42, v1, v42
	v_fmac_f32_e32 v43, 0xbf763a35, v53
	v_mul_f32_e32 v100, 0x3f6eb680, v71
	v_add_f32_e32 v42, v43, v42
	v_mov_b32_e32 v43, v100
	v_fmac_f32_e32 v43, 0x3eb8f4ab, v55
	v_mul_f32_e32 v101, 0xbf59a7d5, v73
	v_add_f32_e32 v42, v43, v42
	v_mov_b32_e32 v43, v101
	;; [unrolled: 4-line block ×7, first 2 shown]
	v_mul_f32_e32 v106, 0x3f763a35, v66
	v_fmac_f32_e32 v42, 0xbf1a4643, v49
	v_mov_b32_e32 v107, v106
	v_add_f32_e32 v42, v0, v42
	v_fmac_f32_e32 v107, 0xbe8c1d8e, v50
	v_add_f32_e32 v42, v107, v42
	v_mul_f32_e32 v107, 0xbeb8f4ab, v67
	v_mov_b32_e32 v108, v107
	v_fmac_f32_e32 v108, 0x3f6eb680, v52
	v_add_f32_e32 v42, v108, v42
	v_mul_f32_e32 v108, 0xbf06c442, v70
	v_mov_b32_e32 v109, v108
	;; [unrolled: 4-line block ×10, first 2 shown]
	v_fmac_f32_e32 v118, 0x3f65296c, v57
	v_add_f32_e32 v118, v118, v117
	v_mul_f32_e32 v117, 0xbf7ba420, v75
	v_add_f32_e32 v2, v0, v2
	v_mov_b32_e32 v119, v117
	v_add_f32_e32 v3, v1, v3
	v_add_f32_e32 v2, v2, v16
	v_mul_f32_e32 v16, 0x3dbcf732, v78
	v_fmac_f32_e32 v119, 0x3e3c28d5, v59
	v_add_f32_e32 v3, v3, v17
	v_add_f32_e32 v2, v2, v18
	v_mov_b32_e32 v17, v16
	v_mul_f32_e32 v18, 0x3f6eb680, v80
	v_add_f32_e32 v118, v119, v118
	v_add_f32_e32 v3, v3, v19
	v_fmac_f32_e32 v17, 0xbf7ee86f, v61
	v_mov_b32_e32 v19, v18
	v_add_f32_e32 v17, v17, v118
	v_fmac_f32_e32 v19, 0x3eb8f4ab, v63
	v_add_f32_e32 v19, v19, v17
	v_mul_f32_e32 v17, 0xbf763a35, v65
	v_mov_b32_e32 v118, v17
	v_add_f32_e32 v3, v3, v21
	v_add_f32_e32 v2, v2, v20
	v_mul_f32_e32 v21, 0x3f06c442, v66
	v_fmac_f32_e32 v118, 0xbe8c1d8e, v49
	v_add_f32_e32 v2, v2, v22
	v_mov_b32_e32 v20, v21
	v_mul_f32_e32 v22, 0x3f2c7751, v67
	v_add_f32_e32 v118, v0, v118
	v_add_f32_e32 v3, v3, v23
	v_fmac_f32_e32 v20, 0xbf59a7d5, v50
	v_mov_b32_e32 v23, v22
	v_add_f32_e32 v20, v20, v118
	v_fmac_f32_e32 v23, 0x3f3d2fb0, v52
	v_add_f32_e32 v20, v23, v20
	v_mul_f32_e32 v23, 0xbf65296c, v70
	v_add_f32_e32 v2, v2, v24
	v_mov_b32_e32 v118, v23
	v_add_f32_e32 v3, v3, v25
	v_add_f32_e32 v24, v2, v26
	v_mul_f32_e32 v26, 0xbe3c28d5, v72
	v_fmac_f32_e32 v118, 0x3ee437d1, v54
	v_add_f32_e32 v25, v3, v27
	v_mov_b32_e32 v2, v26
	v_mul_f32_e32 v27, 0x3f7ee86f, v74
	v_add_f32_e32 v20, v118, v20
	v_fmac_f32_e32 v2, 0xbf7ba420, v56
	v_mov_b32_e32 v3, v27
	v_add_f32_e32 v2, v2, v20
	v_fmac_f32_e32 v3, 0x3dbcf732, v58
	v_mul_f32_e32 v119, 0xbeb8f4ab, v76
	v_add_f32_e32 v2, v3, v2
	v_mov_b32_e32 v3, v119
	v_mul_f32_e32 v118, 0xbf1a4643, v79
	v_fmac_f32_e32 v3, 0x3f6eb680, v60
	v_add_f32_e32 v2, v3, v2
	v_mov_b32_e32 v3, v118
	v_fmac_f32_e32 v3, 0x3f4c4adb, v64
	v_mul_f32_e32 v120, 0xbf4c4adb, v77
	v_add_f32_e32 v3, v3, v19
	v_mov_b32_e32 v19, v120
	v_fmac_f32_e32 v19, 0xbf1a4643, v62
	v_add_f32_e32 v20, v24, v28
	v_add_f32_e32 v2, v19, v2
	;; [unrolled: 1-line block ×10, first 2 shown]
	v_mul_f32_e32 v122, 0xbf7ee86f, v65
	v_add_f32_e32 v9, v13, v9
	v_add_f32_e32 v8, v8, v10
	v_mov_b32_e32 v10, v122
	v_mul_f32_e32 v123, 0xbe3c28d5, v66
	v_add_f32_e32 v9, v9, v11
	v_fmac_f32_e32 v10, 0x3dbcf732, v49
	v_mov_b32_e32 v11, v123
	v_add_f32_e32 v4, v8, v4
	v_mul_f32_e32 v125, 0x3f763a35, v67
	v_add_f32_e32 v10, v0, v10
	v_fmac_f32_e32 v11, 0xbf7ba420, v50
	v_add_f32_e32 v5, v9, v5
	v_add_f32_e32 v4, v4, v6
	v_mov_b32_e32 v6, v125
	v_mul_f32_e32 v126, 0x3eb8f4ab, v70
	v_add_f32_e32 v10, v11, v10
	v_add_f32_e32 v5, v5, v7
	v_fmac_f32_e32 v6, 0xbe8c1d8e, v52
	v_mov_b32_e32 v7, v126
	v_add_f32_e32 v6, v6, v10
	v_fmac_f32_e32 v7, 0x3f6eb680, v54
	v_mul_f32_e32 v127, 0xbf65296c, v72
	v_add_f32_e32 v6, v7, v6
	v_mov_b32_e32 v7, v127
	v_fmac_f32_e32 v7, 0x3ee437d1, v56
	v_add_f32_e32 v4, v4, v44
	v_mul_f32_e32 v44, 0xbf06c442, v74
	v_add_f32_e32 v6, v7, v6
	v_mov_b32_e32 v7, v44
	v_add_f32_e32 v5, v5, v45
	v_fmac_f32_e32 v7, 0xbf59a7d5, v58
	v_mul_f32_e32 v45, 0x3f4c4adb, v76
	v_add_f32_e32 v6, v7, v6
	v_mov_b32_e32 v7, v45
	v_mul_f32_e32 v128, 0x3f2c7751, v77
	v_fmac_f32_e32 v7, 0xbf1a4643, v60
	v_mov_b32_e32 v8, v128
	v_add_f32_e32 v6, v7, v6
	v_fmac_f32_e32 v8, 0x3f3d2fb0, v62
	v_mul_f32_e32 v129, 0x3ee437d1, v68
	v_add_f32_e32 v6, v8, v6
	v_mov_b32_e32 v8, v129
	v_mul_f32_e32 v130, 0xbf1a4643, v69
	v_fmac_f32_e32 v8, 0x3f65296c, v51
	v_mov_b32_e32 v9, v130
	v_add_f32_e32 v8, v1, v8
	v_fmac_f32_e32 v9, 0x3f4c4adb, v53
	v_mul_f32_e32 v131, 0xbf7ba420, v71
	v_add_f32_e32 v8, v9, v8
	v_mov_b32_e32 v9, v131
	v_fmac_f32_e32 v9, 0xbe3c28d5, v55
	v_mul_f32_e32 v132, 0xbe8c1d8e, v73
	v_add_f32_e32 v8, v9, v8
	v_mov_b32_e32 v9, v132
	;; [unrolled: 4-line block ×6, first 2 shown]
	v_mul_f32_e32 v137, 0xbf4c4adb, v66
	v_fmac_f32_e32 v9, 0x3ee437d1, v49
	v_mov_b32_e32 v10, v137
	v_add_f32_e32 v9, v0, v9
	v_fmac_f32_e32 v10, 0xbf1a4643, v50
	v_mul_f32_e32 v138, 0x3e3c28d5, v67
	v_add_f32_e32 v9, v10, v9
	v_mov_b32_e32 v10, v138
	v_fmac_f32_e32 v10, 0xbf7ba420, v52
	v_mul_f32_e32 v139, 0x3f763a35, v70
	v_add_f32_e32 v9, v10, v9
	v_mov_b32_e32 v10, v139
	;; [unrolled: 4-line block ×8, first 2 shown]
	v_mul_f32_e32 v146, 0x3dbcf732, v69
	v_fmac_f32_e32 v10, 0x3f2c7751, v51
	v_mov_b32_e32 v11, v146
	v_add_f32_e32 v10, v1, v10
	v_fmac_f32_e32 v11, 0x3f7ee86f, v53
	v_mul_f32_e32 v147, 0xbf1a4643, v71
	v_add_f32_e32 v10, v11, v10
	v_mov_b32_e32 v11, v147
	v_fmac_f32_e32 v11, 0x3f4c4adb, v55
	v_mul_f32_e32 v148, 0xbf7ba420, v73
	v_add_f32_e32 v10, v11, v10
	v_mov_b32_e32 v11, v148
	;; [unrolled: 4-line block ×6, first 2 shown]
	v_mul_f32_e32 v153, 0xbf7ee86f, v66
	v_fmac_f32_e32 v11, 0x3f3d2fb0, v49
	v_mov_b32_e32 v12, v153
	v_add_f32_e32 v11, v0, v11
	v_fmac_f32_e32 v12, 0x3dbcf732, v50
	v_mul_f32_e32 v154, 0xbf4c4adb, v67
	v_add_f32_e32 v11, v12, v11
	v_mov_b32_e32 v12, v154
	v_fmac_f32_e32 v12, 0xbf1a4643, v52
	v_mul_f32_e32 v155, 0xbe3c28d5, v70
	v_add_f32_e32 v11, v12, v11
	v_mov_b32_e32 v12, v155
	;; [unrolled: 4-line block ×5, first 2 shown]
	v_fmac_f32_e32 v12, 0x3ee437d1, v60
	v_mul_f32_e32 v159, 0x3f6eb680, v79
	v_mul_f32_e32 v24, 0x3dbcf732, v68
	v_add_f32_e32 v12, v12, v11
	v_mov_b32_e32 v11, v159
	v_mov_b32_e32 v25, v24
	v_mul_f32_e32 v28, 0xbf7ba420, v69
	v_fmac_f32_e32 v11, 0xbeb8f4ab, v64
	v_mul_f32_e32 v160, 0x3eb8f4ab, v77
	v_fmac_f32_e32 v25, 0x3f7ee86f, v51
	v_mov_b32_e32 v29, v28
	v_add_f32_e32 v11, v11, v10
	v_mov_b32_e32 v10, v160
	v_add_f32_e32 v25, v1, v25
	v_fmac_f32_e32 v29, 0x3e3c28d5, v53
	v_fmac_f32_e32 v10, 0x3f6eb680, v62
	v_mul_f32_e32 v68, 0x3f6eb680, v68
	v_add_f32_e32 v25, v29, v25
	v_mul_f32_e32 v29, 0xbe8c1d8e, v71
	v_add_f32_e32 v10, v10, v12
	v_mov_b32_e32 v12, v68
	v_mul_f32_e32 v69, 0x3f3d2fb0, v69
	v_mov_b32_e32 v30, v29
	v_fmac_f32_e32 v12, 0x3eb8f4ab, v51
	v_mov_b32_e32 v13, v69
	v_fmac_f32_e32 v30, 0xbf763a35, v55
	v_add_f32_e32 v12, v1, v12
	v_fmac_f32_e32 v13, 0x3f2c7751, v53
	v_mul_f32_e32 v71, 0x3ee437d1, v71
	v_add_f32_e32 v25, v30, v25
	v_mul_f32_e32 v30, 0x3f6eb680, v73
	v_add_f32_e32 v12, v13, v12
	v_mov_b32_e32 v13, v71
	v_mov_b32_e32 v14, v30
	v_fmac_f32_e32 v13, 0x3f65296c, v55
	v_mul_f32_e32 v73, 0x3dbcf732, v73
	v_fmac_f32_e32 v14, 0xbeb8f4ab, v57
	v_add_f32_e32 v12, v13, v12
	v_mov_b32_e32 v13, v73
	v_add_f32_e32 v14, v14, v25
	v_mul_f32_e32 v25, 0x3ee437d1, v75
	v_fmac_f32_e32 v13, 0x3f7ee86f, v57
	v_mul_f32_e32 v75, 0xbe8c1d8e, v75
	v_mov_b32_e32 v15, v25
	v_add_f32_e32 v12, v13, v12
	v_mov_b32_e32 v13, v75
	v_fmac_f32_e32 v15, 0x3f65296c, v59
	v_mul_f32_e32 v31, 0xbf59a7d5, v78
	v_fmac_f32_e32 v13, 0x3f763a35, v59
	v_mul_f32_e32 v78, 0xbf1a4643, v78
	v_add_f32_e32 v14, v15, v14
	v_mov_b32_e32 v15, v31
	v_add_f32_e32 v12, v13, v12
	v_mov_b32_e32 v13, v78
	v_fmac_f32_e32 v15, 0x3f06c442, v61
	v_mul_f32_e32 v121, 0xbf1a4643, v80
	v_fmac_f32_e32 v13, 0x3f4c4adb, v61
	v_mul_f32_e32 v80, 0xbf59a7d5, v80
	v_add_f32_e32 v14, v15, v14
	v_mov_b32_e32 v15, v121
	v_mul_f32_e32 v124, 0x3f3d2fb0, v79
	v_add_f32_e32 v12, v13, v12
	v_mov_b32_e32 v13, v80
	v_fmac_f32_e32 v15, 0xbf4c4adb, v63
	v_mov_b32_e32 v7, v124
	v_fmac_f32_e32 v13, 0x3f06c442, v63
	v_mul_f32_e32 v65, 0xbeb8f4ab, v65
	v_add_f32_e32 v14, v15, v14
	v_fmac_f32_e32 v7, 0xbf2c7751, v64
	v_add_f32_e32 v12, v13, v12
	v_mov_b32_e32 v13, v65
	v_mul_f32_e32 v66, 0xbf2c7751, v66
	v_add_f32_e32 v7, v7, v14
	v_fmac_f32_e32 v13, 0x3f6eb680, v49
	v_mov_b32_e32 v14, v66
	v_add_f32_e32 v13, v0, v13
	v_fmac_f32_e32 v14, 0x3f3d2fb0, v50
	v_mul_f32_e32 v67, 0xbf65296c, v67
	v_add_f32_e32 v13, v14, v13
	v_mov_b32_e32 v14, v67
	v_fmac_f32_e32 v14, 0x3ee437d1, v52
	v_mul_f32_e32 v70, 0xbf7ee86f, v70
	v_add_f32_e32 v13, v14, v13
	v_mov_b32_e32 v14, v70
	;; [unrolled: 4-line block ×7, first 2 shown]
	v_fmac_f32_e32 v12, 0xbf7ba420, v62
	v_fmac_f32_e32 v82, 0xbf06c442, v51
	v_add_f32_e32 v12, v12, v14
	v_add_f32_e32 v14, v1, v82
	v_fmac_f32_e32 v83, 0x3f65296c, v53
	v_fma_f32 v15, v49, s6, -v89
	v_add_f32_e32 v14, v83, v14
	v_fmac_f32_e32 v84, 0xbf7ee86f, v55
	v_add_f32_e32 v15, v0, v15
	v_fma_f32 v19, v50, s11, -v90
	v_add_f32_e32 v14, v84, v14
	v_fmac_f32_e32 v85, 0x3f4c4adb, v57
	v_add_f32_e32 v15, v19, v15
	;; [unrolled: 4-line block ×5, first 2 shown]
	v_fma_f32 v19, v58, s4, -v95
	v_add_f32_e32 v14, v88, v14
	v_add_f32_e32 v15, v19, v15
	v_fma_f32 v19, v60, s7, -v96
	v_fmac_f32_e32 v81, 0xbf763a35, v64
	v_add_f32_e32 v19, v19, v15
	v_add_f32_e32 v15, v81, v14
	v_fma_f32 v14, v62, s14, -v97
	v_fmac_f32_e32 v98, 0xbf4c4adb, v51
	v_add_f32_e32 v14, v14, v19
	v_add_f32_e32 v19, v1, v98
	v_fmac_f32_e32 v99, 0x3f763a35, v53
	v_fma_f32 v20, v49, s10, -v105
	v_add_f32_e32 v19, v99, v19
	v_fmac_f32_e32 v100, 0xbeb8f4ab, v55
	v_add_f32_e32 v20, v0, v20
	v_fma_f32 v81, v50, s14, -v106
	v_add_f32_e32 v19, v100, v19
	v_fmac_f32_e32 v101, 0xbf06c442, v57
	v_add_f32_e32 v20, v81, v20
	;; [unrolled: 4-line block ×5, first 2 shown]
	v_fma_f32 v81, v58, s7, -v110
	v_add_f32_e32 v19, v104, v19
	v_add_f32_e32 v20, v81, v20
	v_fma_f32 v81, v60, s4, -v111
	v_fmac_f32_e32 v91, 0x3f65296c, v64
	v_add_f32_e32 v81, v81, v20
	v_add_f32_e32 v20, v91, v19
	v_fma_f32 v19, v62, s11, -v112
	v_fmac_f32_e32 v113, 0xbf763a35, v51
	v_add_f32_e32 v19, v19, v81
	v_add_f32_e32 v81, v1, v113
	v_fmac_f32_e32 v114, 0x3f06c442, v53
	v_add_f32_e32 v81, v114, v81
	v_fmac_f32_e32 v115, 0x3f2c7751, v55
	;; [unrolled: 2-line block ×6, first 2 shown]
	v_fma_f32 v17, v49, s14, -v17
	v_add_f32_e32 v16, v18, v16
	v_add_f32_e32 v17, v0, v17
	v_fma_f32 v18, v50, s6, -v21
	v_add_f32_e32 v17, v18, v17
	v_fma_f32 v18, v52, s7, -v22
	;; [unrolled: 2-line block ×4, first 2 shown]
	v_fmac_f32_e32 v118, 0xbf4c4adb, v64
	v_add_f32_e32 v18, v18, v17
	v_add_f32_e32 v17, v118, v16
	v_fma_f32 v16, v58, s15, -v27
	v_add_f32_e32 v16, v16, v18
	v_fma_f32 v18, v60, s5, -v119
	v_add_f32_e32 v16, v18, v16
	v_fma_f32 v18, v62, s10, -v120
	v_fmac_f32_e32 v24, 0xbf7ee86f, v51
	v_add_f32_e32 v16, v18, v16
	v_add_f32_e32 v18, v1, v24
	v_fmac_f32_e32 v28, 0xbe3c28d5, v53
	v_add_f32_e32 v18, v28, v18
	v_fmac_f32_e32 v29, 0x3f763a35, v55
	v_add_f32_e32 v18, v29, v18
	v_fmac_f32_e32 v30, 0x3eb8f4ab, v57
	v_add_f32_e32 v18, v30, v18
	v_fmac_f32_e32 v25, 0xbf65296c, v59
	v_add_f32_e32 v18, v25, v18
	v_fmac_f32_e32 v31, 0xbf06c442, v61
	v_add_f32_e32 v18, v31, v18
	v_fmac_f32_e32 v121, 0x3f4c4adb, v63
	v_add_f32_e32 v18, v121, v18
	v_fmac_f32_e32 v124, 0x3f2c7751, v64
	v_add_f32_e32 v22, v124, v18
	v_fma_f32 v18, v49, s15, -v122
	v_add_f32_e32 v18, v0, v18
	v_fma_f32 v21, v50, s4, -v123
	v_add_f32_e32 v18, v21, v18
	v_fma_f32 v21, v52, s14, -v125
	v_add_f32_e32 v18, v21, v18
	v_fma_f32 v21, v54, s5, -v126
	v_add_f32_e32 v18, v21, v18
	v_fma_f32 v21, v56, s11, -v127
	v_add_f32_e32 v18, v21, v18
	v_fma_f32 v21, v58, s6, -v44
	v_add_f32_e32 v18, v21, v18
	v_fma_f32 v21, v60, s10, -v45
	v_add_f32_e32 v18, v21, v18
	v_fma_f32 v21, v62, s7, -v128
	v_fmac_f32_e32 v129, 0xbf65296c, v51
	v_add_f32_e32 v21, v21, v18
	v_add_f32_e32 v18, v1, v129
	v_fmac_f32_e32 v130, 0xbf4c4adb, v53
	v_add_f32_e32 v18, v130, v18
	v_fmac_f32_e32 v131, 0x3e3c28d5, v55
	v_add_f32_e32 v18, v131, v18
	v_fmac_f32_e32 v132, 0x3f763a35, v57
	v_add_f32_e32 v18, v132, v18
	v_fmac_f32_e32 v133, 0x3f2c7751, v59
	v_add_f32_e32 v18, v133, v18
	v_fmac_f32_e32 v134, 0xbeb8f4ab, v61
	v_add_f32_e32 v18, v134, v18
	v_fmac_f32_e32 v135, 0xbf7ee86f, v63
	v_add_f32_e32 v18, v135, v18
	v_fmac_f32_e32 v143, 0xbf06c442, v64
	v_add_f32_e32 v24, v143, v18
	v_fma_f32 v18, v49, s11, -v136
	v_add_f32_e32 v18, v0, v18
	v_fma_f32 v23, v50, s10, -v137
	v_add_f32_e32 v18, v23, v18
	v_fma_f32 v23, v52, s4, -v138
	v_add_f32_e32 v18, v23, v18
	v_fma_f32 v23, v54, s14, -v139
	v_add_f32_e32 v18, v23, v18
	v_fma_f32 v23, v56, s7, -v140
	v_add_f32_e32 v18, v23, v18
	v_fma_f32 v23, v58, s5, -v141
	v_add_f32_e32 v18, v23, v18
	v_fma_f32 v23, v60, s15, -v142
	v_add_f32_e32 v18, v23, v18
	v_fma_f32 v23, v62, s6, -v144
	v_fmac_f32_e32 v145, 0xbf2c7751, v51
	v_add_f32_e32 v23, v23, v18
	v_add_f32_e32 v18, v1, v145
	v_fmac_f32_e32 v146, 0xbf7ee86f, v53
	v_add_f32_e32 v18, v146, v18
	v_fmac_f32_e32 v147, 0xbf4c4adb, v55
	v_add_f32_e32 v18, v147, v18
	v_fmac_f32_e32 v148, 0xbe3c28d5, v57
	v_add_f32_e32 v18, v148, v18
	v_fmac_f32_e32 v149, 0x3f06c442, v59
	v_add_f32_e32 v18, v149, v18
	v_fmac_f32_e32 v150, 0x3f763a35, v61
	v_add_f32_e32 v18, v150, v18
	v_fmac_f32_e32 v151, 0x3f65296c, v63
	v_add_f32_e32 v18, v151, v18
	v_fmac_f32_e32 v159, 0x3eb8f4ab, v64
	v_add_f32_e32 v26, v159, v18
	v_fma_f32 v18, v49, s7, -v152
	v_add_f32_e32 v18, v0, v18
	v_fma_f32 v25, v50, s15, -v153
	v_add_f32_e32 v18, v25, v18
	v_fma_f32 v25, v52, s10, -v154
	v_add_f32_e32 v18, v25, v18
	v_fma_f32 v25, v54, s4, -v155
	v_add_f32_e32 v18, v25, v18
	v_fma_f32 v25, v56, s6, -v156
	v_add_f32_e32 v18, v25, v18
	v_fma_f32 v25, v58, s14, -v157
	v_add_f32_e32 v18, v25, v18
	v_fma_f32 v25, v60, s11, -v158
	;; [unrolled: 2-line block ×4, first 2 shown]
	v_fmac_f32_e32 v68, 0xbeb8f4ab, v51
	v_add_f32_e32 v0, v0, v18
	v_fma_f32 v18, v50, s7, -v66
	v_add_f32_e32 v1, v1, v68
	v_fmac_f32_e32 v69, 0xbf2c7751, v53
	v_add_f32_e32 v0, v18, v0
	v_fma_f32 v18, v52, s11, -v67
	v_add_f32_e32 v1, v69, v1
	v_fmac_f32_e32 v71, 0xbf65296c, v55
	v_add_f32_e32 v0, v18, v0
	v_fma_f32 v18, v54, s15, -v70
	v_add_f32_e32 v1, v71, v1
	v_fmac_f32_e32 v73, 0xbf7ee86f, v57
	v_add_f32_e32 v0, v18, v0
	v_fma_f32 v18, v56, s14, -v72
	v_add_f32_e32 v1, v73, v1
	v_fmac_f32_e32 v75, 0xbf763a35, v59
	v_add_f32_e32 v0, v18, v0
	v_fma_f32 v18, v58, s10, -v74
	v_add_f32_e32 v1, v75, v1
	v_fmac_f32_e32 v78, 0xbf4c4adb, v61
	v_add_f32_e32 v0, v18, v0
	v_fma_f32 v18, v60, s6, -v76
	v_add_f32_e32 v1, v78, v1
	v_fmac_f32_e32 v80, 0xbf06c442, v63
	v_add_f32_e32 v0, v18, v0
	v_fma_f32 v18, v62, s4, -v77
	v_add_f32_e32 v1, v80, v1
	v_fmac_f32_e32 v79, 0xbe3c28d5, v64
	v_add_f32_e32 v0, v18, v0
	v_lshl_add_u32 v18, v32, 7, v46
	v_add_f32_e32 v1, v79, v1
	ds_write2_b64 v18, v[4:5], v[12:13] offset1:1
	ds_write2_b64 v18, v[10:11], v[8:9] offset0:2 offset1:3
	ds_write2_b64 v18, v[6:7], v[2:3] offset0:4 offset1:5
	;; [unrolled: 1-line block ×7, first 2 shown]
	ds_write_b64 v18, v[0:1] offset:128
.LBB0_13:
	s_or_b64 exec, exec, s[2:3]
	s_movk_i32 s2, 0xf1
	v_mul_lo_u16_sdwa v0, v32, s2 dst_sel:DWORD dst_unused:UNUSED_PAD src0_sel:BYTE_0 src1_sel:DWORD
	v_lshrrev_b16_e32 v40, 12, v0
	v_mul_lo_u16_e32 v0, 17, v40
	v_sub_u16_e32 v41, v32, v0
	v_mov_b32_e32 v0, 6
	v_lshlrev_b32_sdwa v16, v0, v41 dst_sel:DWORD dst_unused:UNUSED_PAD src0_sel:DWORD src1_sel:BYTE_0
	s_waitcnt lgkmcnt(0)
	s_barrier
	global_load_dwordx4 v[0:3], v16, s[8:9]
	global_load_dwordx4 v[4:7], v16, s[8:9] offset:16
	global_load_dwordx4 v[8:11], v16, s[8:9] offset:32
	;; [unrolled: 1-line block ×3, first 2 shown]
	ds_read2_b64 v[16:19], v46 offset1:102
	ds_read2_b64 v[20:23], v47 offset0:76 offset1:178
	ds_read2_b64 v[24:27], v48 offset0:152 offset1:254
	;; [unrolled: 1-line block ×3, first 2 shown]
	ds_read_b64 v[38:39], v46 offset:6528
	v_mov_b32_e32 v42, 3
	v_lshlrev_b32_sdwa v41, v42, v41 dst_sel:DWORD dst_unused:UNUSED_PAD src0_sel:DWORD src1_sel:BYTE_0
	s_waitcnt lgkmcnt(4)
	v_mov_b32_e32 v42, v16
	v_mov_b32_e32 v43, v17
	s_mov_b32 s2, 0xbf248dbb
	s_waitcnt vmcnt(0) lgkmcnt(0)
	s_barrier
	v_cmp_gt_u32_e32 vcc, 51, v32
	v_mul_f32_e32 v44, v1, v19
	v_mul_f32_e32 v1, v1, v18
	;; [unrolled: 1-line block ×13, first 2 shown]
	v_fmac_f32_e32 v44, v0, v18
	v_fmac_f32_e32 v53, v38, v14
	v_mul_f32_e32 v7, v7, v24
	v_mul_f32_e32 v9, v9, v26
	;; [unrolled: 1-line block ×3, first 2 shown]
	v_fma_f32 v0, v0, v19, -v1
	v_fmac_f32_e32 v45, v2, v20
	v_fma_f32 v1, v2, v21, -v3
	v_fma_f32 v2, v4, v23, -v5
	v_fmac_f32_e32 v49, v6, v24
	v_fmac_f32_e32 v50, v8, v26
	;; [unrolled: 1-line block ×3, first 2 shown]
	v_fma_f32 v3, v29, v10, -v11
	v_fmac_f32_e32 v52, v30, v12
	v_fma_f32 v5, v39, v14, -v15
	v_sub_f32_e32 v10, v44, v53
	v_fmac_f32_e32 v48, v4, v22
	v_fma_f32 v20, v6, v25, -v7
	v_fma_f32 v21, v8, v27, -v9
	;; [unrolled: 1-line block ×3, first 2 shown]
	v_add_f32_e32 v12, v44, v53
	v_add_f32_e32 v23, v2, v3
	v_sub_f32_e32 v11, v0, v5
	v_sub_f32_e32 v24, v45, v52
	;; [unrolled: 1-line block ×4, first 2 shown]
	v_mul_f32_e32 v2, 0x3f248dbb, v10
	v_add_f32_e32 v13, v0, v5
	v_add_f32_e32 v14, v45, v52
	v_sub_f32_e32 v25, v1, v4
	v_sub_f32_e32 v26, v48, v51
	;; [unrolled: 1-line block ×3, first 2 shown]
	v_mul_f32_e32 v3, 0x3f248dbb, v11
	v_fmac_f32_e32 v42, 0x3f441b7d, v12
	v_mul_f32_e32 v5, 0xbf248dbb, v28
	v_fmac_f32_e32 v2, 0x3f7c1c5c, v24
	v_add_f32_e32 v15, v1, v4
	v_add_f32_e32 v22, v48, v51
	v_fmac_f32_e32 v43, 0x3f441b7d, v13
	v_mul_f32_e32 v4, 0xbf248dbb, v29
	v_fmac_f32_e32 v3, 0x3f7c1c5c, v25
	v_fmac_f32_e32 v42, 0x3e31d0d4, v14
	;; [unrolled: 1-line block ×4, first 2 shown]
	v_add_f32_e32 v30, v49, v50
	v_fmac_f32_e32 v43, 0x3e31d0d4, v15
	v_fmac_f32_e32 v3, 0x3f5db3d7, v27
	v_fmac_f32_e32 v42, -0.5, v22
	v_fmac_f32_e32 v2, 0x3eaf1d44, v28
	v_fmac_f32_e32 v4, 0x3f7c1c5c, v11
	;; [unrolled: 1-line block ×3, first 2 shown]
	v_add_f32_e32 v6, v28, v10
	v_mul_f32_e32 v28, 0x3f7c1c5c, v28
	v_add_f32_e32 v31, v20, v21
	v_fmac_f32_e32 v43, -0.5, v23
	v_fmac_f32_e32 v3, 0x3eaf1d44, v29
	v_fmac_f32_e32 v42, 0xbf708fb2, v30
	;; [unrolled: 1-line block ×4, first 2 shown]
	v_add_f32_e32 v7, v29, v11
	v_sub_f32_e32 v8, v6, v24
	v_mul_f32_e32 v29, 0x3f7c1c5c, v29
	v_fma_f32 v24, v24, s2, -v28
	v_fmac_f32_e32 v43, 0xbf708fb2, v31
	v_sub_f32_e32 v0, v42, v3
	v_fmac_f32_e32 v4, 0x3eaf1d44, v25
	v_sub_f32_e32 v9, v7, v25
	v_add_f32_e32 v42, v14, v12
	v_fma_f32 v25, v25, s2, -v29
	v_fmac_f32_e32 v24, 0x3f5db3d7, v26
	v_add_f32_e32 v1, v2, v43
	v_add_f32_e32 v43, v15, v13
	v_fmac_f32_e32 v25, 0x3f5db3d7, v27
	v_fmac_f32_e32 v24, 0x3eaf1d44, v10
	v_add_f32_e32 v10, v22, v42
	v_fmac_f32_e32 v25, 0x3eaf1d44, v11
	v_add_f32_e32 v11, v23, v43
	v_add_f32_e32 v10, v49, v10
	;; [unrolled: 1-line block ×4, first 2 shown]
	v_fma_f32 v18, 2.0, v3, v0
	v_fma_f32 v19, -2.0, v2, v1
	v_mov_b32_e32 v2, v16
	v_mov_b32_e32 v3, v17
	v_add_f32_e32 v6, v22, v16
	v_add_f32_e32 v11, v21, v11
	;; [unrolled: 1-line block ×3, first 2 shown]
	v_fmac_f32_e32 v16, 0x3f441b7d, v14
	v_fmac_f32_e32 v2, 0x3f441b7d, v30
	;; [unrolled: 1-line block ×3, first 2 shown]
	v_add_f32_e32 v7, v23, v17
	v_add_f32_e32 v11, v17, v11
	v_fmac_f32_e32 v17, 0x3f441b7d, v15
	v_fmac_f32_e32 v16, 0x3e31d0d4, v30
	;; [unrolled: 1-line block ×5, first 2 shown]
	v_fmac_f32_e32 v16, -0.5, v22
	v_fmac_f32_e32 v2, -0.5, v22
	v_fmac_f32_e32 v3, -0.5, v23
	v_add_f32_e32 v44, v30, v42
	v_add_f32_e32 v45, v31, v43
	v_fmac_f32_e32 v17, -0.5, v23
	v_fmac_f32_e32 v16, 0xbf708fb2, v12
	v_fmac_f32_e32 v2, 0xbf708fb2, v14
	;; [unrolled: 1-line block ×3, first 2 shown]
	v_fmac_f32_e32 v6, -0.5, v44
	v_fmac_f32_e32 v7, -0.5, v45
	v_fmac_f32_e32 v17, 0xbf708fb2, v13
	v_sub_f32_e32 v12, v16, v25
	v_mul_u32_u24_e32 v16, 0x4c8, v40
	v_sub_f32_e32 v2, v2, v4
	v_add_f32_e32 v3, v5, v3
	v_mul_f32_e32 v38, 0x3f5db3d7, v8
	v_mul_f32_e32 v39, 0x3f5db3d7, v9
	v_fmac_f32_e32 v6, 0xbf5db3d7, v9
	v_fmac_f32_e32 v7, 0x3f5db3d7, v8
	v_add_f32_e32 v13, v24, v17
	v_add3_u32 v16, 0, v16, v41
	v_fma_f32 v4, 2.0, v4, v2
	v_fma_f32 v5, -2.0, v5, v3
	v_fma_f32 v8, 2.0, v39, v6
	v_fma_f32 v9, -2.0, v38, v7
	;; [unrolled: 2-line block ×3, first 2 shown]
	ds_write2_b64 v16, v[10:11], v[0:1] offset1:17
	ds_write2_b64 v16, v[2:3], v[6:7] offset0:34 offset1:51
	ds_write2_b64 v16, v[12:13], v[14:15] offset0:68 offset1:85
	;; [unrolled: 1-line block ×3, first 2 shown]
	ds_write_b64 v16, v[18:19] offset:1088
	v_add_u32_e32 v0, 0xc00, v46
	s_waitcnt lgkmcnt(0)
	s_barrier
	ds_read2_b64 v[4:7], v46 offset1:102
	ds_read2_b64 v[12:15], v0 offset0:75 offset1:177
	ds_read2_b64 v[0:3], v47 offset0:76 offset1:178
	;; [unrolled: 1-line block ×3, first 2 shown]
	s_and_saveexec_b64 s[2:3], vcc
	s_cbranch_execz .LBB0_15
; %bb.14:
	ds_read_b64 v[18:19], v46 offset:3264
	ds_read_b64 v[36:37], v46 offset:6936
.LBB0_15:
	s_or_b64 exec, exec, s[2:3]
	v_mov_b32_e32 v33, 0
	v_add_u32_e32 v21, 0x66, v32
	v_lshlrev_b64 v[16:17], 3, v[32:33]
	v_subrev_u32_e32 v26, 51, v32
	v_cndmask_b32_e32 v26, v26, v21, vcc
	v_mov_b32_e32 v27, v33
	v_mov_b32_e32 v29, s9
	v_add_co_u32_e64 v22, s[2:3], s8, v16
	v_lshlrev_b64 v[27:28], 3, v[26:27]
	v_addc_co_u32_e64 v23, s[2:3], v29, v17, s[2:3]
	v_add_u32_e32 v20, 0x132, v32
	v_add_co_u32_e64 v27, s[2:3], s8, v27
	s_movk_i32 s4, 0x358b
	v_addc_co_u32_e64 v28, s[2:3], v29, v28, s[2:3]
	v_mul_u32_u24_sdwa v29, v20, s4 dst_sel:DWORD dst_unused:UNUSED_PAD src0_sel:WORD_0 src1_sel:DWORD
	v_lshrrev_b32_e32 v29, 21, v29
	v_mul_lo_u16_e32 v29, 0x99, v29
	global_load_dwordx2 v[24:25], v[22:23], off offset:1088
	v_sub_u16_e32 v20, v20, v29
	global_load_dwordx2 v[27:28], v[27:28], off offset:1088
	v_lshlrev_b32_e32 v31, 3, v20
	global_load_dwordx2 v[29:30], v31, s[8:9] offset:1088
	global_load_dwordx2 v[38:39], v[22:23], off offset:1496
	v_lshlrev_b32_e32 v23, 3, v26
	v_mov_b32_e32 v22, 0x990
	v_cmp_lt_u32_e64 s[2:3], 50, v32
	v_cndmask_b32_e64 v22, 0, v22, s[2:3]
	v_add_u32_e32 v20, 0x800, v46
	v_add3_u32 v22, 0, v22, v23
	v_add_u32_e32 v23, 0, v31
	s_waitcnt vmcnt(0) lgkmcnt(0)
	s_barrier
	v_add_u32_e32 v23, 0x1000, v23
	v_mul_f32_e32 v26, v25, v13
	v_mul_f32_e32 v25, v25, v12
	v_fmac_f32_e32 v26, v24, v12
	v_fma_f32 v13, v24, v13, -v25
	v_mul_f32_e32 v24, v28, v15
	v_mul_f32_e32 v12, v28, v14
	v_fmac_f32_e32 v24, v27, v14
	v_fma_f32 v14, v27, v15, -v12
	v_mul_f32_e32 v15, v39, v9
	v_mul_f32_e32 v25, v39, v8
	;; [unrolled: 1-line block ×4, first 2 shown]
	v_sub_f32_e32 v12, v4, v26
	v_sub_f32_e32 v13, v5, v13
	v_fmac_f32_e32 v15, v38, v8
	v_fma_f32 v25, v38, v9, -v25
	v_fmac_f32_e32 v27, v29, v10
	v_fma_f32 v26, v29, v11, -v28
	v_sub_f32_e32 v8, v6, v24
	v_sub_f32_e32 v9, v7, v14
	v_fma_f32 v4, v4, 2.0, -v12
	v_fma_f32 v5, v5, 2.0, -v13
	;; [unrolled: 1-line block ×4, first 2 shown]
	v_sub_f32_e32 v10, v0, v15
	v_sub_f32_e32 v11, v1, v25
	;; [unrolled: 1-line block ×4, first 2 shown]
	ds_write2_b64 v46, v[4:5], v[12:13] offset1:153
	v_fma_f32 v0, v0, 2.0, -v10
	v_fma_f32 v1, v1, 2.0, -v11
	;; [unrolled: 1-line block ×4, first 2 shown]
	ds_write2_b64 v22, v[6:7], v[8:9] offset1:153
	ds_write2_b64 v20, v[0:1], v[10:11] offset0:101 offset1:254
	ds_write2_b64 v23, v[2:3], v[14:15] offset0:100 offset1:253
	s_and_saveexec_b64 s[2:3], vcc
	s_cbranch_execz .LBB0_17
; %bb.16:
	v_add_u32_e32 v0, 0x198, v32
	v_mul_u32_u24_sdwa v1, v0, s4 dst_sel:DWORD dst_unused:UNUSED_PAD src0_sel:WORD_0 src1_sel:DWORD
	v_lshrrev_b32_e32 v1, 21, v1
	v_mul_lo_u16_e32 v1, 0x99, v1
	v_sub_u16_e32 v0, v0, v1
	v_lshlrev_b32_e32 v2, 3, v0
	global_load_dwordx2 v[0:1], v2, s[8:9] offset:1088
	v_add_u32_e32 v4, 0, v2
	v_add_u32_e32 v4, 0x1000, v4
	s_waitcnt vmcnt(0)
	v_mul_f32_e32 v2, v36, v1
	v_mul_f32_e32 v3, v37, v1
	v_fma_f32 v1, v37, v0, -v2
	v_fmac_f32_e32 v3, v36, v0
	v_sub_f32_e32 v1, v19, v1
	v_sub_f32_e32 v0, v18, v3
	v_fma_f32 v3, v19, 2.0, -v1
	v_fma_f32 v2, v18, 2.0, -v0
	ds_write2_b64 v4, v[2:3], v[0:1] offset0:100 offset1:253
.LBB0_17:
	s_or_b64 exec, exec, s[2:3]
	v_lshlrev_b32_e32 v8, 1, v32
	v_mov_b32_e32 v9, v33
	v_lshlrev_b64 v[0:1], 3, v[8:9]
	v_lshlrev_b32_e32 v4, 1, v21
	v_mov_b32_e32 v5, v33
	v_mov_b32_e32 v10, s9
	v_add_co_u32_e64 v0, s[2:3], s8, v0
	v_lshlrev_b64 v[4:5], 3, v[4:5]
	v_addc_co_u32_e64 v1, s[2:3], v10, v1, s[2:3]
	v_add_u32_e32 v8, 0x198, v8
	v_add_co_u32_e64 v4, s[2:3], s8, v4
	v_lshlrev_b64 v[8:9], 3, v[8:9]
	v_addc_co_u32_e64 v5, s[2:3], v10, v5, s[2:3]
	v_add_co_u32_e64 v8, s[2:3], s8, v8
	s_waitcnt lgkmcnt(0)
	s_barrier
	global_load_dwordx4 v[0:3], v[0:1], off offset:2312
	v_addc_co_u32_e64 v9, s[2:3], v10, v9, s[2:3]
	global_load_dwordx4 v[4:7], v[4:5], off offset:2312
	v_add_u32_e32 v29, 0x400, v46
	global_load_dwordx4 v[8:11], v[8:9], off offset:2312
	ds_read2_b64 v[21:24], v29 offset0:76 offset1:178
	v_add_u32_e32 v30, 0x1000, v46
	ds_read2_b64 v[12:15], v46 offset1:102
	ds_read2_b64 v[25:28], v30 offset0:100 offset1:202
	ds_read2_b64 v[36:39], v20 offset0:152 offset1:254
	ds_read_b64 v[18:19], v46 offset:6528
	s_waitcnt vmcnt(0) lgkmcnt(0)
	s_barrier
	s_add_u32 s6, s8, 0x1c28
	s_addc_u32 s7, s9, 0
	v_cmp_ne_u32_e64 s[2:3], 0, v32
	v_mul_f32_e32 v31, v1, v24
	v_mul_f32_e32 v1, v1, v23
	;; [unrolled: 1-line block ×8, first 2 shown]
	v_fmac_f32_e32 v31, v0, v23
	v_fma_f32 v0, v0, v24, -v1
	v_fma_f32 v1, v2, v26, -v3
	v_mul_f32_e32 v3, v9, v38
	v_fmac_f32_e32 v33, v2, v25
	v_fmac_f32_e32 v40, v4, v36
	v_fma_f32 v2, v4, v37, -v5
	v_fma_f32 v5, v6, v28, -v7
	v_mul_f32_e32 v24, v19, v11
	v_mul_f32_e32 v4, v18, v11
	v_fma_f32 v25, v8, v39, -v3
	v_add_f32_e32 v3, v12, v31
	v_add_f32_e32 v7, v0, v1
	v_fmac_f32_e32 v41, v6, v27
	v_mul_f32_e32 v23, v9, v39
	v_fmac_f32_e32 v24, v18, v10
	v_fma_f32 v18, v19, v10, -v4
	v_add_f32_e32 v4, v31, v33
	v_sub_f32_e32 v10, v0, v1
	v_add_f32_e32 v6, v13, v0
	v_add_f32_e32 v0, v3, v33
	v_fma_f32 v3, -0.5, v7, v13
	v_fmac_f32_e32 v23, v8, v38
	v_sub_f32_e32 v11, v31, v33
	v_sub_f32_e32 v19, v2, v5
	v_add_f32_e32 v26, v15, v2
	v_add_f32_e32 v27, v2, v5
	v_fma_f32 v2, -0.5, v4, v12
	v_mov_b32_e32 v7, v3
	v_add_f32_e32 v1, v6, v1
	v_mov_b32_e32 v6, v2
	v_fmac_f32_e32 v3, 0xbf5db3d7, v11
	v_fmac_f32_e32 v7, 0x3f5db3d7, v11
	v_add_f32_e32 v11, v23, v24
	v_fmac_f32_e32 v2, 0x3f5db3d7, v10
	v_fmac_f32_e32 v6, 0xbf5db3d7, v10
	v_add_f32_e32 v10, v21, v23
	v_fma_f32 v21, -0.5, v11, v21
	v_add_f32_e32 v9, v40, v41
	v_sub_f32_e32 v11, v25, v18
	v_mov_b32_e32 v12, v21
	v_add_f32_e32 v13, v25, v18
	v_add_f32_e32 v8, v14, v40
	v_fma_f32 v14, -0.5, v9, v14
	v_fmac_f32_e32 v15, -0.5, v27
	v_fmac_f32_e32 v12, 0xbf5db3d7, v11
	v_fmac_f32_e32 v21, 0x3f5db3d7, v11
	v_add_f32_e32 v11, v22, v25
	v_fmac_f32_e32 v22, -0.5, v13
	v_sub_f32_e32 v28, v40, v41
	v_add_f32_e32 v4, v8, v41
	v_add_f32_e32 v5, v26, v5
	v_mov_b32_e32 v8, v14
	v_mov_b32_e32 v9, v15
	v_add_f32_e32 v11, v11, v18
	v_sub_f32_e32 v18, v23, v24
	v_mov_b32_e32 v13, v22
	v_fmac_f32_e32 v14, 0x3f5db3d7, v19
	v_fmac_f32_e32 v8, 0xbf5db3d7, v19
	;; [unrolled: 1-line block ×4, first 2 shown]
	v_add_f32_e32 v10, v10, v24
	v_fmac_f32_e32 v13, 0x3f5db3d7, v18
	v_fmac_f32_e32 v22, 0xbf5db3d7, v18
	ds_write2_b64 v46, v[0:1], v[4:5] offset1:102
	ds_write2_b64 v30, v[2:3], v[14:15] offset0:100 offset1:202
	ds_write2_b64 v29, v[10:11], v[6:7] offset0:76 offset1:178
	;; [unrolled: 1-line block ×3, first 2 shown]
	ds_write_b64 v46, v[21:22] offset:6528
	s_waitcnt lgkmcnt(0)
	s_barrier
	ds_read_b64 v[0:1], v46
	v_lshlrev_b32_e32 v2, 3, v32
	v_sub_u32_e32 v4, 0, v2
                                        ; implicit-def: $vgpr3
                                        ; implicit-def: $vgpr5
	s_and_saveexec_b64 s[4:5], s[2:3]
	s_xor_b64 s[4:5], exec, s[4:5]
	s_cbranch_execz .LBB0_19
; %bb.18:
	v_mov_b32_e32 v3, s7
	v_add_co_u32_e64 v2, s[2:3], s6, v16
	v_addc_co_u32_e64 v3, s[2:3], v3, v17, s[2:3]
	global_load_dwordx2 v[6:7], v[2:3], off
	ds_read_b64 v[2:3], v4 offset:7344
	s_waitcnt lgkmcnt(0)
	v_add_f32_e32 v8, v2, v0
	v_sub_f32_e32 v0, v0, v2
	v_add_f32_e32 v5, v3, v1
	v_sub_f32_e32 v1, v1, v3
	v_mul_f32_e32 v0, 0.5, v0
	v_mul_f32_e32 v2, 0.5, v5
	;; [unrolled: 1-line block ×3, first 2 shown]
	s_waitcnt vmcnt(0)
	v_mul_f32_e32 v3, v7, v0
	v_fma_f32 v5, v2, v7, v1
	v_fma_f32 v1, v2, v7, -v1
	v_fma_f32 v7, 0.5, v8, v3
	v_fma_f32 v3, v8, 0.5, -v3
	v_fmac_f32_e32 v7, v6, v2
	v_fma_f32 v5, -v6, v0, v5
	v_fma_f32 v2, -v6, v2, v3
	ds_write_b32 v46, v7
	v_fma_f32 v3, -v6, v0, v1
                                        ; implicit-def: $vgpr0_vgpr1
.LBB0_19:
	s_andn2_saveexec_b64 s[2:3], s[4:5]
	s_cbranch_execz .LBB0_21
; %bb.20:
	v_mov_b32_e32 v5, 0
	ds_read_b32 v3, v5 offset:3676
	s_waitcnt lgkmcnt(1)
	v_add_f32_e32 v6, v0, v1
	v_sub_f32_e32 v2, v0, v1
	ds_write_b32 v46, v6
	s_waitcnt lgkmcnt(1)
	v_xor_b32_e32 v0, 0x80000000, v3
	v_mov_b32_e32 v3, v5
	ds_write_b32 v5, v0 offset:3676
.LBB0_21:
	s_or_b64 exec, exec, s[2:3]
	s_waitcnt lgkmcnt(0)
	v_mov_b32_e32 v1, s7
	v_add_co_u32_e64 v0, s[2:3], s6, v16
	v_addc_co_u32_e64 v1, s[2:3], v1, v17, s[2:3]
	global_load_dwordx2 v[6:7], v[0:1], off offset:816
	global_load_dwordx2 v[8:9], v[0:1], off offset:1632
	;; [unrolled: 1-line block ×3, first 2 shown]
	ds_write_b32 v46, v5 offset:4
	ds_write_b64 v4, v[2:3] offset:7344
	ds_read_b64 v[2:3], v46 offset:816
	ds_read_b64 v[12:13], v4 offset:6528
	s_waitcnt lgkmcnt(0)
	v_add_f32_e32 v5, v2, v12
	v_sub_f32_e32 v2, v2, v12
	v_add_f32_e32 v14, v3, v13
	v_sub_f32_e32 v3, v3, v13
	v_mul_f32_e32 v13, 0.5, v2
	v_mul_f32_e32 v12, 0.5, v14
	v_mul_f32_e32 v2, 0.5, v3
	s_waitcnt vmcnt(2)
	v_mul_f32_e32 v14, v7, v13
	v_fma_f32 v3, v12, v7, v2
	v_fma_f32 v7, v12, v7, -v2
	v_fma_f32 v2, 0.5, v5, v14
	v_fma_f32 v3, -v6, v13, v3
	v_fma_f32 v5, v5, 0.5, -v14
	v_fmac_f32_e32 v2, v6, v12
	v_fma_f32 v7, -v6, v13, v7
	v_fma_f32 v6, -v6, v12, v5
	ds_write_b64 v46, v[2:3] offset:816
	ds_write_b64 v4, v[6:7] offset:6528
	ds_read_b64 v[2:3], v46 offset:1632
	ds_read_b64 v[5:6], v4 offset:5712
	s_waitcnt lgkmcnt(0)
	v_add_f32_e32 v7, v2, v5
	v_sub_f32_e32 v2, v2, v5
	v_add_f32_e32 v12, v3, v6
	v_sub_f32_e32 v3, v3, v6
	v_mul_f32_e32 v6, 0.5, v2
	v_mul_f32_e32 v5, 0.5, v12
	v_mul_f32_e32 v2, 0.5, v3
	s_waitcnt vmcnt(1)
	v_mul_f32_e32 v12, v9, v6
	v_fma_f32 v3, v5, v9, v2
	v_fma_f32 v9, v5, v9, -v2
	v_fma_f32 v2, 0.5, v7, v12
	v_fma_f32 v3, -v8, v6, v3
	v_fma_f32 v7, v7, 0.5, -v12
	v_fmac_f32_e32 v2, v8, v5
	v_fma_f32 v6, -v8, v6, v9
	v_fma_f32 v5, -v8, v5, v7
	ds_write_b64 v46, v[2:3] offset:1632
	;; [unrolled: 22-line block ×3, first 2 shown]
	ds_write_b64 v4, v[5:6] offset:4896
	s_and_saveexec_b64 s[2:3], vcc
	s_cbranch_execz .LBB0_23
; %bb.22:
	global_load_dwordx2 v[0:1], v[0:1], off offset:3264
	ds_read_b64 v[2:3], v46 offset:3264
	ds_read_b64 v[5:6], v4 offset:4080
	s_waitcnt lgkmcnt(0)
	v_add_f32_e32 v7, v2, v5
	v_sub_f32_e32 v2, v2, v5
	v_add_f32_e32 v8, v3, v6
	v_sub_f32_e32 v3, v3, v6
	v_mul_f32_e32 v6, 0.5, v2
	v_mul_f32_e32 v5, 0.5, v8
	v_mul_f32_e32 v2, 0.5, v3
	s_waitcnt vmcnt(0)
	v_mul_f32_e32 v3, v1, v6
	v_fma_f32 v8, v5, v1, v2
	v_fma_f32 v9, v5, v1, -v2
	v_fma_f32 v1, 0.5, v7, v3
	v_fma_f32 v2, -v0, v6, v8
	v_fma_f32 v3, v7, 0.5, -v3
	v_fmac_f32_e32 v1, v0, v5
	v_fma_f32 v6, -v0, v6, v9
	v_fma_f32 v5, -v0, v5, v3
	ds_write_b64 v46, v[1:2] offset:3264
	ds_write_b64 v4, v[5:6] offset:4080
.LBB0_23:
	s_or_b64 exec, exec, s[2:3]
	s_waitcnt lgkmcnt(0)
	s_barrier
	s_and_saveexec_b64 s[2:3], s[0:1]
	s_cbranch_execz .LBB0_26
; %bb.24:
	ds_read2_b64 v[2:5], v46 offset1:102
	v_mov_b32_e32 v0, s13
	v_add_co_u32_e32 v1, vcc, s12, v34
	v_add_u32_e32 v6, 0x400, v46
	v_addc_co_u32_e32 v0, vcc, v0, v35, vcc
	ds_read2_b64 v[6:9], v6 offset0:76 offset1:178
	v_add_co_u32_e32 v14, vcc, v1, v16
	v_add_u32_e32 v10, 0x800, v46
	v_addc_co_u32_e32 v15, vcc, v0, v17, vcc
	ds_read2_b64 v[10:13], v10 offset0:152 offset1:254
	s_waitcnt lgkmcnt(2)
	global_store_dwordx2 v[14:15], v[2:3], off
	global_store_dwordx2 v[14:15], v[4:5], off offset:816
	s_waitcnt lgkmcnt(1)
	global_store_dwordx2 v[14:15], v[6:7], off offset:1632
	global_store_dwordx2 v[14:15], v[8:9], off offset:2448
	s_waitcnt lgkmcnt(0)
	global_store_dwordx2 v[14:15], v[10:11], off offset:3264
	global_store_dwordx2 v[14:15], v[12:13], off offset:4080
	v_add_u32_e32 v2, 0x1000, v46
	ds_read2_b64 v[2:5], v2 offset0:100 offset1:202
	v_add_co_u32_e32 v6, vcc, 0x1000, v14
	ds_read_b64 v[8:9], v46 offset:6528
	v_addc_co_u32_e32 v7, vcc, 0, v15, vcc
	s_movk_i32 s0, 0x65
	v_cmp_eq_u32_e32 vcc, s0, v32
	s_waitcnt lgkmcnt(1)
	global_store_dwordx2 v[6:7], v[2:3], off offset:800
	global_store_dwordx2 v[6:7], v[4:5], off offset:1616
	s_waitcnt lgkmcnt(0)
	global_store_dwordx2 v[6:7], v[8:9], off offset:2432
	s_and_b64 exec, exec, vcc
	s_cbranch_execz .LBB0_26
; %bb.25:
	v_mov_b32_e32 v2, 0
	ds_read_b64 v[2:3], v2 offset:7344
	v_add_co_u32_e32 v4, vcc, 0x1000, v1
	v_addc_co_u32_e32 v5, vcc, 0, v0, vcc
	s_waitcnt lgkmcnt(0)
	global_store_dwordx2 v[4:5], v[2:3], off offset:3248
.LBB0_26:
	s_endpgm
	.section	.rodata,"a",@progbits
	.p2align	6, 0x0
	.amdhsa_kernel fft_rtc_back_len918_factors_17_9_2_3_wgs_102_tpt_102_halfLds_sp_ip_CI_unitstride_sbrr_R2C_dirReg
		.amdhsa_group_segment_fixed_size 0
		.amdhsa_private_segment_fixed_size 0
		.amdhsa_kernarg_size 88
		.amdhsa_user_sgpr_count 6
		.amdhsa_user_sgpr_private_segment_buffer 1
		.amdhsa_user_sgpr_dispatch_ptr 0
		.amdhsa_user_sgpr_queue_ptr 0
		.amdhsa_user_sgpr_kernarg_segment_ptr 1
		.amdhsa_user_sgpr_dispatch_id 0
		.amdhsa_user_sgpr_flat_scratch_init 0
		.amdhsa_user_sgpr_private_segment_size 0
		.amdhsa_uses_dynamic_stack 0
		.amdhsa_system_sgpr_private_segment_wavefront_offset 0
		.amdhsa_system_sgpr_workgroup_id_x 1
		.amdhsa_system_sgpr_workgroup_id_y 0
		.amdhsa_system_sgpr_workgroup_id_z 0
		.amdhsa_system_sgpr_workgroup_info 0
		.amdhsa_system_vgpr_workitem_id 0
		.amdhsa_next_free_vgpr 161
		.amdhsa_next_free_sgpr 22
		.amdhsa_reserve_vcc 1
		.amdhsa_reserve_flat_scratch 0
		.amdhsa_float_round_mode_32 0
		.amdhsa_float_round_mode_16_64 0
		.amdhsa_float_denorm_mode_32 3
		.amdhsa_float_denorm_mode_16_64 3
		.amdhsa_dx10_clamp 1
		.amdhsa_ieee_mode 1
		.amdhsa_fp16_overflow 0
		.amdhsa_exception_fp_ieee_invalid_op 0
		.amdhsa_exception_fp_denorm_src 0
		.amdhsa_exception_fp_ieee_div_zero 0
		.amdhsa_exception_fp_ieee_overflow 0
		.amdhsa_exception_fp_ieee_underflow 0
		.amdhsa_exception_fp_ieee_inexact 0
		.amdhsa_exception_int_div_zero 0
	.end_amdhsa_kernel
	.text
.Lfunc_end0:
	.size	fft_rtc_back_len918_factors_17_9_2_3_wgs_102_tpt_102_halfLds_sp_ip_CI_unitstride_sbrr_R2C_dirReg, .Lfunc_end0-fft_rtc_back_len918_factors_17_9_2_3_wgs_102_tpt_102_halfLds_sp_ip_CI_unitstride_sbrr_R2C_dirReg
                                        ; -- End function
	.section	.AMDGPU.csdata,"",@progbits
; Kernel info:
; codeLenInByte = 9912
; NumSgprs: 26
; NumVgprs: 161
; ScratchSize: 0
; MemoryBound: 0
; FloatMode: 240
; IeeeMode: 1
; LDSByteSize: 0 bytes/workgroup (compile time only)
; SGPRBlocks: 3
; VGPRBlocks: 40
; NumSGPRsForWavesPerEU: 26
; NumVGPRsForWavesPerEU: 161
; Occupancy: 1
; WaveLimiterHint : 1
; COMPUTE_PGM_RSRC2:SCRATCH_EN: 0
; COMPUTE_PGM_RSRC2:USER_SGPR: 6
; COMPUTE_PGM_RSRC2:TRAP_HANDLER: 0
; COMPUTE_PGM_RSRC2:TGID_X_EN: 1
; COMPUTE_PGM_RSRC2:TGID_Y_EN: 0
; COMPUTE_PGM_RSRC2:TGID_Z_EN: 0
; COMPUTE_PGM_RSRC2:TIDIG_COMP_CNT: 0
	.type	__hip_cuid_928f7c7b6f58f3ec,@object ; @__hip_cuid_928f7c7b6f58f3ec
	.section	.bss,"aw",@nobits
	.globl	__hip_cuid_928f7c7b6f58f3ec
__hip_cuid_928f7c7b6f58f3ec:
	.byte	0                               ; 0x0
	.size	__hip_cuid_928f7c7b6f58f3ec, 1

	.ident	"AMD clang version 19.0.0git (https://github.com/RadeonOpenCompute/llvm-project roc-6.4.0 25133 c7fe45cf4b819c5991fe208aaa96edf142730f1d)"
	.section	".note.GNU-stack","",@progbits
	.addrsig
	.addrsig_sym __hip_cuid_928f7c7b6f58f3ec
	.amdgpu_metadata
---
amdhsa.kernels:
  - .args:
      - .actual_access:  read_only
        .address_space:  global
        .offset:         0
        .size:           8
        .value_kind:     global_buffer
      - .offset:         8
        .size:           8
        .value_kind:     by_value
      - .actual_access:  read_only
        .address_space:  global
        .offset:         16
        .size:           8
        .value_kind:     global_buffer
      - .actual_access:  read_only
        .address_space:  global
        .offset:         24
        .size:           8
        .value_kind:     global_buffer
      - .offset:         32
        .size:           8
        .value_kind:     by_value
      - .actual_access:  read_only
        .address_space:  global
        .offset:         40
        .size:           8
        .value_kind:     global_buffer
      - .actual_access:  read_only
        .address_space:  global
        .offset:         48
        .size:           8
        .value_kind:     global_buffer
      - .offset:         56
        .size:           4
        .value_kind:     by_value
      - .actual_access:  read_only
        .address_space:  global
        .offset:         64
        .size:           8
        .value_kind:     global_buffer
      - .actual_access:  read_only
        .address_space:  global
        .offset:         72
        .size:           8
        .value_kind:     global_buffer
      - .address_space:  global
        .offset:         80
        .size:           8
        .value_kind:     global_buffer
    .group_segment_fixed_size: 0
    .kernarg_segment_align: 8
    .kernarg_segment_size: 88
    .language:       OpenCL C
    .language_version:
      - 2
      - 0
    .max_flat_workgroup_size: 102
    .name:           fft_rtc_back_len918_factors_17_9_2_3_wgs_102_tpt_102_halfLds_sp_ip_CI_unitstride_sbrr_R2C_dirReg
    .private_segment_fixed_size: 0
    .sgpr_count:     26
    .sgpr_spill_count: 0
    .symbol:         fft_rtc_back_len918_factors_17_9_2_3_wgs_102_tpt_102_halfLds_sp_ip_CI_unitstride_sbrr_R2C_dirReg.kd
    .uniform_work_group_size: 1
    .uses_dynamic_stack: false
    .vgpr_count:     161
    .vgpr_spill_count: 0
    .wavefront_size: 64
amdhsa.target:   amdgcn-amd-amdhsa--gfx906
amdhsa.version:
  - 1
  - 2
...

	.end_amdgpu_metadata
